;; amdgpu-corpus repo=ROCm/rocFFT kind=compiled arch=gfx1201 opt=O3
	.text
	.amdgcn_target "amdgcn-amd-amdhsa--gfx1201"
	.amdhsa_code_object_version 6
	.protected	fft_rtc_fwd_len112_factors_2_4_7_2_wgs_128_tpt_8_dim2_dp_op_CI_CI_unitstride_sbrc_aligned_dirReg ; -- Begin function fft_rtc_fwd_len112_factors_2_4_7_2_wgs_128_tpt_8_dim2_dp_op_CI_CI_unitstride_sbrc_aligned_dirReg
	.globl	fft_rtc_fwd_len112_factors_2_4_7_2_wgs_128_tpt_8_dim2_dp_op_CI_CI_unitstride_sbrc_aligned_dirReg
	.p2align	8
	.type	fft_rtc_fwd_len112_factors_2_4_7_2_wgs_128_tpt_8_dim2_dp_op_CI_CI_unitstride_sbrc_aligned_dirReg,@function
fft_rtc_fwd_len112_factors_2_4_7_2_wgs_128_tpt_8_dim2_dp_op_CI_CI_unitstride_sbrc_aligned_dirReg: ; @fft_rtc_fwd_len112_factors_2_4_7_2_wgs_128_tpt_8_dim2_dp_op_CI_CI_unitstride_sbrc_aligned_dirReg
; %bb.0:
	s_load_b256 s[4:11], s[0:1], 0x0
	v_mul_u32_u24_e32 v1, 0x24a, v0
	v_or_b32_e32 v3, 0x80, v0
	v_mov_b32_e32 v2, 0
	v_or_b32_e32 v4, 0x100, v0
	v_or_b32_e32 v5, 0x180, v0
	v_lshrrev_b32_e32 v59, 16, v1
	v_and_b32_e32 v1, 0xffff, v3
	v_or_b32_e32 v6, 0x200, v0
	v_and_b32_e32 v7, 0xffff, v4
	v_or_b32_e32 v19, 0x280, v0
	v_and_b32_e32 v8, 0xffff, v5
	v_mul_u32_u24_e32 v1, 0x24a, v1
	v_and_b32_e32 v9, 0xffff, v6
	v_mul_u32_u24_e32 v7, 0x24a, v7
	;; [unrolled: 2-line block ×3, first 2 shown]
	v_lshrrev_b32_e32 v61, 16, v1
	v_mul_u32_u24_e32 v9, 0x493, v9
	v_lshrrev_b32_e32 v62, 16, v7
	s_wait_kmcnt 0x0
	s_load_b32 s2, s[6:7], 0x8
	s_load_b128 s[12:15], s[8:9], 0x8
	v_mul_u32_u24_e32 v10, 0x493, v10
	v_lshrrev_b32_e32 v63, 16, v8
	v_mul_lo_u16 v8, 0x70, v61
	v_lshrrev_b32_e32 v64, 17, v9
	v_mul_lo_u16 v9, 0x70, v62
	v_mul_lo_u16 v11, 0x70, v59
	v_lshrrev_b32_e32 v65, 17, v10
	v_mul_lo_u16 v10, 0x70, v63
	v_sub_nc_u16 v66, v3, v8
	s_load_b64 s[6:7], s[0:1], 0x50
	v_sub_nc_u16 v67, v4, v9
	v_sub_nc_u16 v60, v0, v11
	v_mul_lo_u16 v11, 0x70, v64
	v_sub_nc_u16 v68, v5, v10
	v_and_b32_e32 v5, 0xffff, v66
	s_mov_b32 s17, 0
	v_and_b32_e32 v7, 0xffff, v60
	v_sub_nc_u16 v69, v6, v11
	s_wait_kmcnt 0x0
	s_add_co_i32 s2, s2, -1
	v_lshlrev_b32_e32 v9, 4, v5
	s_lshr_b32 s2, s2, 4
	v_lshlrev_b32_e32 v13, 4, v7
	s_add_co_i32 s8, s2, 1
	s_not_b32 s2, s2
	s_cvt_f32_u32 s9, s8
	v_and_b32_e32 v7, 0xffff, v67
	v_and_b32_e32 v8, 0xffff, v68
	s_mov_b32 s3, s17
	v_rcp_iflag_f32_e32 v1, s9
	v_or_b32_e32 v23, 0x300, v0
	v_lshlrev_b32_e32 v10, 4, v7
	v_lshlrev_b32_e32 v14, 4, v8
	v_and_b32_e32 v17, 0xffff, v69
	v_or_b32_e32 v27, 0x380, v0
	v_or_b32_e32 v31, 0x400, v0
	;; [unrolled: 1-line block ×4, first 2 shown]
	v_lshlrev_b32_e32 v22, 4, v17
	v_readfirstlane_b32 s9, v1
	v_mul_lo_u32 v1, s12, v59
	v_and_b32_e32 v29, 0xffff, v31
	v_or_b32_e32 v42, 0x580, v0
	v_or_b32_e32 v45, 0x680, v0
	s_mul_f32 s9, s9, 0x4f7ffffe
	v_lshrrev_b32_e32 v80, 4, v0
	v_mul_u32_u24_e32 v29, 0x925, v29
	v_and_b32_e32 v78, 15, v0
	s_wait_alu 0xfffe
	s_cvt_u32_f32 s9, s9
	v_lshlrev_b64_e32 v[3:4], 4, v[1:2]
	v_mul_lo_u32 v1, s12, v61
	v_lshrrev_b32_e32 v75, 18, v29
	s_wait_alu 0xfffe
	s_mul_i32 s2, s2, s9
	v_and_b32_e32 v29, 0xffff, v33
	s_mul_hi_u32 s2, s9, s2
	v_lshlrev_b32_e32 v91, 8, v80
	s_add_co_i32 s9, s9, s2
	v_mul_lo_u16 v35, 0x70, v75
	s_wait_alu 0xfffe
	s_mul_hi_u32 s2, ttmp9, s9
	v_lshlrev_b64_e32 v[5:6], 4, v[1:2]
	s_mul_i32 s9, s2, s8
	s_add_co_i32 s13, s2, 1
	s_wait_alu 0xfffe
	s_sub_co_i32 s9, ttmp9, s9
	v_mul_lo_u32 v1, s12, v62
	s_wait_alu 0xfffe
	s_sub_co_i32 s16, s9, s8
	s_cmp_ge_u32 s9, s8
	v_mul_u32_u24_e32 v36, 0x925, v29
	s_cselect_b32 s2, s13, s2
	s_cselect_b32 s9, s16, s9
	s_add_co_i32 s13, s2, 1
	s_wait_alu 0xfffe
	s_cmp_ge_u32 s9, s8
	v_lshlrev_b64_e32 v[7:8], 4, v[1:2]
	s_cselect_b32 s2, s13, s2
	v_mul_lo_u32 v1, s12, v63
	s_mul_i32 s8, s2, s8
	v_sub_nc_u16 v76, v31, v35
	s_wait_alu 0xfffe
	s_sub_co_i32 s13, ttmp9, s8
	s_mul_u64 s[8:9], s[14:15], s[2:3]
	s_wait_alu 0xfffe
	s_lshl_b32 s30, s13, 4
	s_lshl_b64 s[8:9], s[8:9], 4
	s_mul_i32 s16, s30, s12
	s_wait_alu 0xfffe
	s_add_nc_u64 s[6:7], s[6:7], s[8:9]
	s_lshl_b64 s[8:9], s[16:17], 4
	v_lshlrev_b64_e32 v[11:12], 4, v[1:2]
	s_wait_alu 0xfffe
	s_add_nc_u64 s[6:7], s[6:7], s[8:9]
	v_lshrrev_b32_e32 v81, 18, v36
	v_add_co_u32 v1, s8, s6, v13
	s_wait_alu 0xf1ff
	v_add_co_ci_u32_e64 v13, null, s7, 0, s8
	v_add_co_u32 v9, s8, s6, v9
	s_wait_alu 0xf1ff
	v_add_co_ci_u32_e64 v15, null, s7, 0, s8
	v_add_co_u32 v3, vcc_lo, v1, v3
	v_add_co_u32 v16, s8, s6, v10
	v_add_co_ci_u32_e32 v4, vcc_lo, v13, v4, vcc_lo
	s_wait_alu 0xf1ff
	v_add_co_ci_u32_e64 v18, null, s7, 0, s8
	v_add_co_u32 v9, vcc_lo, v9, v5
	v_add_co_u32 v20, s8, s6, v14
	s_wait_alu 0xfffd
	v_add_co_ci_u32_e32 v10, vcc_lo, v15, v6, vcc_lo
	s_wait_alu 0xf1ff
	v_add_co_ci_u32_e64 v21, null, s7, 0, s8
	v_add_co_u32 v13, vcc_lo, v16, v7
	s_wait_alu 0xfffd
	v_add_co_ci_u32_e32 v14, vcc_lo, v18, v8, vcc_lo
	v_add_co_u32 v15, vcc_lo, v20, v11
	v_mul_lo_u32 v1, s12, v64
	s_wait_alu 0xfffd
	v_add_co_ci_u32_e32 v16, vcc_lo, v21, v12, vcc_lo
	v_mul_lo_u16 v20, 0x70, v65
	v_and_b32_e32 v21, 0xffff, v23
	v_add_co_u32 v22, s8, s6, v22
	s_wait_alu 0xf1ff
	v_add_co_ci_u32_e64 v24, null, s7, 0, s8
	v_sub_nc_u16 v70, v19, v20
	v_mul_u32_u24_e32 v21, 0x493, v21
	v_lshlrev_b64_e32 v[19:20], 4, v[1:2]
	v_mul_lo_u32 v1, s12, v65
	v_mul_lo_u16 v35, 0x70, v81
	v_and_b32_e32 v25, 0xffff, v70
	v_lshrrev_b32_e32 v71, 17, v21
	s_clause 0x1
	global_load_b128 v[3:6], v[3:4], off
	global_load_b128 v[7:10], v[9:10], off
	v_add_co_u32 v19, vcc_lo, v22, v19
	s_wait_alu 0xfffd
	v_add_co_ci_u32_e32 v20, vcc_lo, v24, v20, vcc_lo
	v_lshlrev_b32_e32 v24, 4, v25
	v_lshlrev_b64_e32 v[21:22], 4, v[1:2]
	v_mul_lo_u16 v1, 0x70, v71
	v_and_b32_e32 v25, 0xffff, v27
	v_sub_nc_u16 v82, v33, v35
	v_add_co_u32 v24, s8, s6, v24
	s_delay_alu instid0(VALU_DEP_4) | instskip(NEXT) | instid1(VALU_DEP_4)
	v_sub_nc_u16 v72, v23, v1
	v_mul_u32_u24_e32 v1, 0x493, v25
	s_wait_alu 0xf1ff
	v_add_co_ci_u32_e64 v26, null, s7, 0, s8
	v_add_co_u32 v23, vcc_lo, v24, v21
	s_delay_alu instid0(VALU_DEP_3)
	v_lshrrev_b32_e32 v73, 17, v1
	v_and_b32_e32 v28, 0xffff, v72
	v_mul_lo_u32 v1, s12, v71
	s_wait_alu 0xfffd
	v_add_co_ci_u32_e32 v24, vcc_lo, v26, v22, vcc_lo
	v_mul_lo_u16 v30, 0x70, v73
	v_lshlrev_b32_e32 v28, 4, v28
	v_and_b32_e32 v35, 0xffff, v39
	v_and_b32_e32 v37, 0xffff, v82
	s_clause 0x1
	global_load_b128 v[11:14], v[13:14], off
	global_load_b128 v[15:18], v[15:16], off
	v_sub_nc_u16 v74, v27, v30
	v_add_co_u32 v32, s8, s6, v28
	v_lshlrev_b64_e32 v[27:28], 4, v[1:2]
	v_mul_lo_u32 v1, s12, v73
	s_delay_alu instid0(VALU_DEP_4)
	v_and_b32_e32 v30, 0xffff, v74
	s_wait_alu 0xf1ff
	v_add_co_ci_u32_e64 v34, null, s7, 0, s8
	v_mul_u32_u24_e32 v38, 0x925, v35
	v_add_co_u32 v27, vcc_lo, v32, v27
	v_lshlrev_b32_e32 v32, 4, v30
	v_lshlrev_b64_e32 v[29:30], 4, v[1:2]
	s_wait_alu 0xfffd
	v_add_co_ci_u32_e32 v28, vcc_lo, v34, v28, vcc_lo
	v_and_b32_e32 v34, 0xffff, v76
	v_add_co_u32 v1, s8, s6, v32
	s_wait_alu 0xf1ff
	v_add_co_ci_u32_e64 v32, null, s7, 0, s8
	s_delay_alu instid0(VALU_DEP_3) | instskip(NEXT) | instid1(VALU_DEP_3)
	v_lshlrev_b32_e32 v36, 4, v34
	v_add_co_u32 v31, vcc_lo, v1, v29
	v_mul_lo_u32 v1, s12, v75
	s_wait_alu 0xfffd
	v_add_co_ci_u32_e32 v32, vcc_lo, v32, v30, vcc_lo
	v_add_co_u32 v40, s8, s6, v36
	s_wait_alu 0xf1ff
	v_add_co_ci_u32_e64 v41, null, s7, 0, s8
	v_lshlrev_b32_e32 v37, 4, v37
	v_lshlrev_b64_e32 v[35:36], 4, v[1:2]
	v_mul_lo_u32 v1, s12, v81
	v_lshrrev_b32_e32 v83, 18, v38
	s_clause 0x1
	global_load_b128 v[19:22], v[19:20], off
	global_load_b128 v[23:26], v[23:24], off
	v_add_co_u32 v43, s8, s6, v37
	v_add_co_u32 v35, vcc_lo, v40, v35
	s_wait_alu 0xfffd
	v_add_co_ci_u32_e32 v36, vcc_lo, v41, v36, vcc_lo
	v_and_b32_e32 v41, 0xffff, v42
	v_lshlrev_b64_e32 v[37:38], 4, v[1:2]
	v_mul_lo_u16 v40, 0x70, v83
	s_wait_alu 0xf1ff
	v_add_co_ci_u32_e64 v44, null, s7, 0, s8
	v_mul_u32_u24_e32 v1, 0x925, v41
	v_or_b32_e32 v41, 0x600, v0
	v_sub_nc_u16 v84, v39, v40
	v_add_co_u32 v39, vcc_lo, v43, v37
	s_delay_alu instid0(VALU_DEP_4)
	v_lshrrev_b32_e32 v85, 18, v1
	s_wait_alu 0xfffd
	v_add_co_ci_u32_e32 v40, vcc_lo, v44, v38, vcc_lo
	v_and_b32_e32 v38, 0xffff, v41
	v_and_b32_e32 v37, 0xffff, v84
	v_mul_lo_u16 v44, 0x70, v85
	v_and_b32_e32 v43, 0xffff, v45
	v_mul_lo_u32 v1, s12, v83
	v_mul_u32_u24_e32 v38, 0x925, v38
	v_lshlrev_b32_e32 v37, 4, v37
	v_sub_nc_u16 v86, v42, v44
	v_mul_u32_u24_e32 v43, 0x925, v43
	s_clause 0x1
	global_load_b128 v[27:30], v[27:28], off
	global_load_b128 v[31:34], v[31:32], off
	v_lshrrev_b32_e32 v87, 18, v38
	v_add_co_u32 v46, s8, s6, v37
	v_and_b32_e32 v42, 0xffff, v86
	v_lshrrev_b32_e32 v88, 18, v43
	v_lshlrev_b64_e32 v[37:38], 4, v[1:2]
	v_mul_lo_u32 v1, s12, v85
	v_mul_lo_u16 v48, 0x70, v87
	s_wait_alu 0xf1ff
	v_add_co_ci_u32_e64 v47, null, s7, 0, s8
	v_lshlrev_b32_e32 v42, 4, v42
	v_mul_lo_u16 v49, 0x70, v88
	v_add_co_u32 v43, vcc_lo, v46, v37
	v_sub_nc_u16 v89, v41, v48
	s_wait_alu 0xfffd
	v_add_co_ci_u32_e32 v44, vcc_lo, v47, v38, vcc_lo
	v_lshlrev_b64_e32 v[37:38], 4, v[1:2]
	v_mul_lo_u32 v1, s12, v87
	v_add_co_u32 v41, s8, s6, v42
	v_sub_nc_u16 v90, v45, v49
	s_wait_alu 0xf1ff
	v_add_co_ci_u32_e64 v42, null, s7, 0, s8
	v_and_b32_e32 v45, 0xffff, v89
	v_add_co_u32 v47, vcc_lo, v41, v37
	v_and_b32_e32 v46, 0xffff, v90
	s_wait_alu 0xfffd
	v_add_co_ci_u32_e32 v48, vcc_lo, v42, v38, vcc_lo
	v_lshlrev_b64_e32 v[37:38], 4, v[1:2]
	v_mul_lo_u32 v1, s12, v88
	v_lshlrev_b32_e32 v41, 4, v45
	v_lshlrev_b32_e32 v42, 4, v46
	;; [unrolled: 1-line block ×3, first 2 shown]
	s_delay_alu instid0(VALU_DEP_3)
	v_add_co_u32 v41, s8, s6, v41
	s_wait_alu 0xf1ff
	v_add_co_ci_u32_e64 v45, null, s7, 0, s8
	v_lshlrev_b64_e32 v[1:2], 4, v[1:2]
	v_add_co_u32 v42, s6, s6, v42
	s_wait_alu 0xf1ff
	v_add_co_ci_u32_e64 v46, null, s7, 0, s6
	v_add_co_u32 v51, vcc_lo, v41, v37
	s_wait_alu 0xfffd
	v_add_co_ci_u32_e32 v52, vcc_lo, v45, v38, vcc_lo
	v_add_co_u32 v1, vcc_lo, v42, v1
	s_wait_alu 0xfffd
	v_add_co_ci_u32_e32 v2, vcc_lo, v46, v2, vcc_lo
	s_clause 0x5
	global_load_b128 v[35:38], v[35:36], off
	global_load_b128 v[39:42], v[39:40], off
	;; [unrolled: 1-line block ×6, first 2 shown]
	v_lshlrev_b16 v1, 4, v60
	v_lshlrev_b16 v2, 4, v66
	v_lshlrev_b16 v60, 4, v68
	v_lshlrev_b16 v66, 4, v69
	v_lshlrev_b16 v68, 4, v72
	v_or_b32_e32 v1, v1, v59
	v_lshlrev_b16 v59, 4, v67
	v_lshlrev_b16 v67, 4, v70
	;; [unrolled: 1-line block ×9, first 2 shown]
	v_or_b32_e32 v2, v2, v61
	v_or_b32_e32 v59, v59, v62
	;; [unrolled: 1-line block ×4, first 2 shown]
	v_and_b32_e32 v1, 0xffff, v1
	v_or_b32_e32 v62, v67, v65
	v_or_b32_e32 v63, v68, v71
	;; [unrolled: 1-line block ×9, first 2 shown]
	v_and_b32_e32 v2, 0xffff, v2
	v_and_b32_e32 v59, 0xffff, v59
	;; [unrolled: 1-line block ×4, first 2 shown]
	v_add3_u32 v79, 0, v91, v77
	v_lshl_add_u32 v1, v1, 4, 0
	v_and_b32_e32 v62, 0xffff, v62
	v_and_b32_e32 v63, 0xffff, v63
	;; [unrolled: 1-line block ×9, first 2 shown]
	v_lshl_add_u32 v2, v2, 4, 0
	v_lshl_add_u32 v59, v59, 4, 0
	v_lshl_add_u32 v60, v60, 4, 0
	v_lshl_add_u32 v61, v61, 4, 0
	s_load_b128 s[8:11], s[10:11], 0x8
	v_lshl_add_u32 v62, v62, 4, 0
	v_lshl_add_u32 v63, v63, 4, 0
	;; [unrolled: 1-line block ×9, first 2 shown]
	v_or_b32_e32 v88, 8, v80
	v_or_b32_e32 v81, 16, v80
	;; [unrolled: 1-line block ×6, first 2 shown]
	v_cmp_gt_u32_e32 vcc_lo, 64, v0
	v_lshlrev_b32_e32 v90, 8, v82
	s_wait_loadcnt 0xd
	ds_store_b128 v1, v[3:6]
	s_wait_loadcnt 0xc
	ds_store_b128 v2, v[7:10]
	;; [unrolled: 2-line block ×14, first 2 shown]
	global_wb scope:SCOPE_SE
	s_wait_dscnt 0x0
	s_wait_kmcnt 0x0
	s_barrier_signal -1
	s_barrier_wait -1
	global_inv scope:SCOPE_SE
	ds_load_b128 v[1:4], v79 offset:14336
	ds_load_b128 v[5:8], v79
	ds_load_b128 v[9:12], v79 offset:2048
	ds_load_b128 v[13:16], v79 offset:16384
	;; [unrolled: 1-line block ×12, first 2 shown]
	v_and_b32_e32 v61, 0x70, v0
	v_lshlrev_b32_e32 v62, 9, v85
	v_lshlrev_b32_e32 v63, 9, v84
	;; [unrolled: 1-line block ×3, first 2 shown]
	v_add_nc_u32_e32 v65, v79, v91
	global_wb scope:SCOPE_SE
	s_wait_dscnt 0x0
	v_add3_u32 v62, 0, v62, v77
	v_add_f64_e64 v[57:58], v[5:6], -v[1:2]
	v_add_f64_e64 v[59:60], v[7:8], -v[3:4]
	;; [unrolled: 1-line block ×14, first 2 shown]
	v_add3_u32 v63, 0, v63, v77
	v_add3_u32 v87, 0, v64, v77
	s_barrier_signal -1
	s_barrier_wait -1
	global_inv scope:SCOPE_SE
	v_fma_f64 v[53:54], v[5:6], 2.0, -v[57:58]
	v_fma_f64 v[55:56], v[7:8], 2.0, -v[59:60]
	;; [unrolled: 1-line block ×14, first 2 shown]
	v_lshlrev_b32_e32 v49, 4, v61
	v_lshlrev_b32_e32 v50, 9, v88
	;; [unrolled: 1-line block ×5, first 2 shown]
	v_add3_u32 v89, 0, v49, v77
	v_lshlrev_b32_e32 v49, 8, v88
	v_add3_u32 v50, 0, v50, v77
	v_add3_u32 v51, 0, v51, v77
	;; [unrolled: 1-line block ×5, first 2 shown]
	ds_store_b128 v65, v[53:56]
	ds_store_b128 v65, v[57:60] offset:256
	ds_store_b128 v50, v[9:12]
	ds_store_b128 v50, v[13:16] offset:256
	;; [unrolled: 2-line block ×7, first 2 shown]
	global_wb scope:SCOPE_SE
	s_wait_dscnt 0x0
	s_barrier_signal -1
	s_barrier_wait -1
	global_inv scope:SCOPE_SE
	ds_load_b128 v[21:24], v89
	ds_load_b128 v[69:72], v89 offset:7168
	ds_load_b128 v[57:60], v89 offset:14336
	ds_load_b128 v[41:44], v89 offset:16384
	ds_load_b128 v[25:28], v86
	ds_load_b128 v[17:20], v87
	ds_load_b128 v[61:64], v89 offset:9216
	ds_load_b128 v[45:48], v89 offset:11264
	;; [unrolled: 1-line block ×6, first 2 shown]
                                        ; implicit-def: $vgpr11_vgpr12
                                        ; implicit-def: $vgpr15_vgpr16
	s_and_saveexec_b32 s6, vcc_lo
	s_cbranch_execz .LBB0_2
; %bb.1:
	v_add3_u32 v5, 0, v90, v77
	ds_load_b128 v[1:4], v89 offset:13312
	ds_load_b128 v[9:12], v89 offset:20480
	ds_load_b128 v[5:8], v5
	ds_load_b128 v[13:16], v89 offset:27648
.LBB0_2:
	s_wait_alu 0xfffe
	s_or_b32 exec_lo, exec_lo, s6
	v_bfe_u32 v91, v0, 4, 1
	s_load_b64 s[0:1], s[0:1], 0x58
	s_delay_alu instid0(VALU_DEP_1) | instskip(NEXT) | instid1(VALU_DEP_1)
	v_mul_u32_u24_e32 v29, 3, v91
	v_lshlrev_b32_e32 v29, 4, v29
	s_clause 0x2
	global_load_b128 v[37:40], v29, s[4:5]
	global_load_b128 v[33:36], v29, s[4:5] offset:16
	global_load_b128 v[29:32], v29, s[4:5] offset:32
	global_wb scope:SCOPE_SE
	s_wait_loadcnt_dscnt 0x0
	s_wait_kmcnt 0x0
	s_barrier_signal -1
	s_barrier_wait -1
	global_inv scope:SCOPE_SE
	v_mul_f64_e32 v[92:93], v[71:72], v[39:40]
	v_mul_f64_e32 v[94:95], v[69:70], v[39:40]
	;; [unrolled: 1-line block ×18, first 2 shown]
	v_fma_f64 v[69:70], v[69:70], v[37:38], -v[92:93]
	v_fma_f64 v[71:72], v[71:72], v[37:38], v[94:95]
	v_fma_f64 v[57:58], v[57:58], v[33:34], -v[96:97]
	v_fma_f64 v[59:60], v[59:60], v[33:34], v[98:99]
	;; [unrolled: 2-line block ×9, first 2 shown]
	v_add_f64_e64 v[57:58], v[21:22], -v[57:58]
	v_add_f64_e64 v[59:60], v[23:24], -v[59:60]
	;; [unrolled: 1-line block ×12, first 2 shown]
	v_fma_f64 v[67:68], v[21:22], 2.0, -v[57:58]
	v_fma_f64 v[100:101], v[23:24], 2.0, -v[59:60]
	;; [unrolled: 1-line block ×8, first 2 shown]
	v_add_f64_e64 v[21:22], v[92:93], -v[41:42]
	v_fma_f64 v[102:103], v[17:18], 2.0, -v[96:97]
	v_fma_f64 v[104:105], v[19:20], 2.0, -v[98:99]
	;; [unrolled: 1-line block ×4, first 2 shown]
	v_add_f64_e64 v[17:18], v[57:58], -v[75:76]
	v_add_f64_e32 v[19:20], v[59:60], v[73:74]
	v_add_f64_e64 v[45:46], v[96:97], -v[49:50]
	v_add_f64_e64 v[25:26], v[67:68], -v[23:24]
	;; [unrolled: 1-line block ×3, first 2 shown]
	v_add_f64_e32 v[23:24], v[94:95], v[65:66]
	v_add_f64_e64 v[41:42], v[69:70], -v[51:52]
	v_add_f64_e64 v[43:44], v[71:72], -v[55:56]
	;; [unrolled: 1-line block ×4, first 2 shown]
	v_add_f64_e32 v[47:48], v[98:99], v[53:54]
	v_fma_f64 v[53:54], v[57:58], 2.0, -v[17:18]
	v_fma_f64 v[55:56], v[59:60], 2.0, -v[19:20]
	;; [unrolled: 1-line block ×3, first 2 shown]
	v_lshl_or_b32 v92, v80, 2, v80
	v_lshl_or_b32 v93, v88, 2, v80
	s_delay_alu instid0(VALU_DEP_2) | instskip(NEXT) | instid1(VALU_DEP_2)
	v_and_b32_e32 v92, 25, v92
	v_and_b32_e32 v93, 57, v93
	s_delay_alu instid0(VALU_DEP_2) | instskip(NEXT) | instid1(VALU_DEP_2)
	v_lshlrev_b32_e32 v92, 8, v92
	v_lshlrev_b32_e32 v93, 8, v93
	s_delay_alu instid0(VALU_DEP_2) | instskip(NEXT) | instid1(VALU_DEP_2)
	v_add3_u32 v92, 0, v92, v77
	v_add3_u32 v93, 0, v93, v77
	v_fma_f64 v[61:62], v[67:68], 2.0, -v[25:26]
	v_fma_f64 v[63:64], v[100:101], 2.0, -v[27:28]
	;; [unrolled: 1-line block ×3, first 2 shown]
	v_lshl_or_b32 v94, v81, 2, v80
	v_fma_f64 v[65:66], v[69:70], 2.0, -v[41:42]
	v_fma_f64 v[67:68], v[71:72], 2.0, -v[43:44]
	;; [unrolled: 1-line block ×3, first 2 shown]
	s_delay_alu instid0(VALU_DEP_4) | instskip(SKIP_3) | instid1(VALU_DEP_4)
	v_and_b32_e32 v94, 0x79, v94
	v_fma_f64 v[73:74], v[102:103], 2.0, -v[49:50]
	v_fma_f64 v[75:76], v[104:105], 2.0, -v[51:52]
	;; [unrolled: 1-line block ×3, first 2 shown]
	v_lshlrev_b32_e32 v94, 8, v94
	s_delay_alu instid0(VALU_DEP_1)
	v_add3_u32 v94, 0, v94, v77
	ds_store_b128 v92, v[17:20] offset:1536
	ds_store_b128 v92, v[25:28] offset:1024
	;; [unrolled: 1-line block ×3, first 2 shown]
	ds_store_b128 v92, v[61:64]
	ds_store_b128 v93, v[65:68]
	ds_store_b128 v93, v[57:60] offset:512
	ds_store_b128 v93, v[41:44] offset:1024
	;; [unrolled: 1-line block ×3, first 2 shown]
	ds_store_b128 v94, v[73:76]
	ds_store_b128 v94, v[69:72] offset:512
	ds_store_b128 v94, v[49:52] offset:1024
	;; [unrolled: 1-line block ×3, first 2 shown]
	s_and_saveexec_b32 s6, vcc_lo
	s_cbranch_execz .LBB0_4
; %bb.3:
	v_mul_f64_e32 v[17:18], v[9:10], v[35:36]
	v_mul_f64_e32 v[19:20], v[3:4], v[39:40]
	;; [unrolled: 1-line block ×6, first 2 shown]
	v_fma_f64 v[11:12], v[11:12], v[33:34], v[17:18]
	v_fma_f64 v[1:2], v[1:2], v[37:38], -v[19:20]
	v_fma_f64 v[3:4], v[3:4], v[37:38], v[21:22]
	v_fma_f64 v[15:16], v[15:16], v[29:30], v[23:24]
	v_fma_f64 v[9:10], v[9:10], v[33:34], -v[25:26]
	v_fma_f64 v[13:14], v[13:14], v[29:30], -v[27:28]
	v_add_f64_e64 v[11:12], v[7:8], -v[11:12]
	s_delay_alu instid0(VALU_DEP_4) | instskip(NEXT) | instid1(VALU_DEP_4)
	v_add_f64_e64 v[15:16], v[3:4], -v[15:16]
	v_add_f64_e64 v[9:10], v[5:6], -v[9:10]
	s_delay_alu instid0(VALU_DEP_4) | instskip(NEXT) | instid1(VALU_DEP_4)
	v_add_f64_e64 v[13:14], v[1:2], -v[13:14]
	v_fma_f64 v[17:18], v[7:8], 2.0, -v[11:12]
	s_delay_alu instid0(VALU_DEP_4) | instskip(NEXT) | instid1(VALU_DEP_4)
	v_fma_f64 v[7:8], v[3:4], 2.0, -v[15:16]
	v_fma_f64 v[19:20], v[5:6], 2.0, -v[9:10]
	s_delay_alu instid0(VALU_DEP_4) | instskip(SKIP_1) | instid1(VALU_DEP_4)
	v_fma_f64 v[1:2], v[1:2], 2.0, -v[13:14]
	v_add_f64_e32 v[3:4], v[11:12], v[13:14]
	v_add_f64_e64 v[7:8], v[17:18], -v[7:8]
	s_delay_alu instid0(VALU_DEP_3) | instskip(SKIP_1) | instid1(VALU_DEP_4)
	v_add_f64_e64 v[5:6], v[19:20], -v[1:2]
	v_add_f64_e64 v[1:2], v[9:10], -v[15:16]
	v_fma_f64 v[11:12], v[11:12], 2.0, -v[3:4]
	s_delay_alu instid0(VALU_DEP_4) | instskip(SKIP_3) | instid1(VALU_DEP_3)
	v_fma_f64 v[15:16], v[17:18], 2.0, -v[7:8]
	v_lshlrev_b32_e32 v17, 2, v82
	v_fma_f64 v[13:14], v[19:20], 2.0, -v[5:6]
	v_fma_f64 v[9:10], v[9:10], 2.0, -v[1:2]
	v_and_or_b32 v17, 0x68, v17, v91
	s_delay_alu instid0(VALU_DEP_1) | instskip(NEXT) | instid1(VALU_DEP_1)
	v_lshlrev_b32_e32 v17, 8, v17
	v_add3_u32 v17, 0, v17, v77
	ds_store_b128 v17, v[13:16]
	ds_store_b128 v17, v[9:12] offset:512
	ds_store_b128 v17, v[5:8] offset:1024
	;; [unrolled: 1-line block ×3, first 2 shown]
.LBB0_4:
	s_wait_alu 0xfffe
	s_or_b32 exec_lo, exec_lo, s6
	v_mul_u32_u24_e32 v1, 6, v80
	v_cmp_gt_u32_e32 vcc_lo, 0x380, v0
	global_wb scope:SCOPE_SE
	s_wait_dscnt 0x0
	s_barrier_signal -1
	s_barrier_wait -1
	v_lshlrev_b32_e32 v1, 4, v1
	global_inv scope:SCOPE_SE
	s_mov_b32 s26, 0x37e14327
	s_mov_b32 s28, 0xe976ee23
	;; [unrolled: 1-line block ×3, first 2 shown]
	s_clause 0x5
	global_load_b128 v[5:8], v1, s[4:5] offset:96
	global_load_b128 v[9:12], v1, s[4:5] offset:112
	;; [unrolled: 1-line block ×6, first 2 shown]
	v_lshlrev_b32_e32 v1, 8, v83
	s_mov_b32 s16, 0x36b3c0b5
	s_mov_b32 s29, 0xbfe11646
	;; [unrolled: 1-line block ×4, first 2 shown]
	v_add3_u32 v38, 0, v1, v77
	v_lshlrev_b32_e32 v1, 8, v84
	s_mov_b32 s7, 0x3febfeb5
	ds_load_b128 v[29:32], v87
	ds_load_b128 v[33:36], v38
	ds_load_b128 v[40:43], v89 offset:24576
	ds_load_b128 v[44:47], v89 offset:20480
	;; [unrolled: 1-line block ×3, first 2 shown]
	v_add3_u32 v39, 0, v1, v77
	ds_load_b128 v[52:55], v89 offset:10240
	ds_load_b128 v[1:4], v86
	ds_load_b128 v[56:59], v89 offset:26624
	ds_load_b128 v[60:63], v89 offset:22528
	ds_load_b128 v[64:67], v39
	ds_load_b128 v[68:71], v89 offset:14336
	ds_load_b128 v[72:75], v89
	ds_load_b128 v[91:94], v89 offset:16384
	ds_load_b128 v[95:98], v89 offset:18432
	s_mov_b32 s12, 0xaaaaaaaa
	s_mov_b32 s22, 0xb247c609
	;; [unrolled: 1-line block ×12, first 2 shown]
	v_lshrrev_b32_e32 v76, 3, v88
	global_wb scope:SCOPE_SE
	s_wait_loadcnt_dscnt 0x0
	s_barrier_signal -1
	s_barrier_wait -1
	global_inv scope:SCOPE_SE
	v_mul_f64_e32 v[99:100], v[31:32], v[7:8]
	v_mul_f64_e32 v[101:102], v[29:30], v[7:8]
	;; [unrolled: 1-line block ×20, first 2 shown]
	v_fma_f64 v[29:30], v[29:30], v[5:6], -v[99:100]
	v_fma_f64 v[31:32], v[31:32], v[5:6], v[101:102]
	v_fma_f64 v[33:34], v[33:34], v[9:10], -v[103:104]
	v_fma_f64 v[35:36], v[35:36], v[9:10], v[105:106]
	;; [unrolled: 2-line block ×4, first 2 shown]
	v_mul_f64_e32 v[99:100], v[70:71], v[23:24]
	v_mul_f64_e32 v[23:24], v[68:69], v[23:24]
	;; [unrolled: 1-line block ×4, first 2 shown]
	v_fma_f64 v[48:49], v[48:49], v[5:6], -v[115:116]
	v_fma_f64 v[50:51], v[50:51], v[5:6], v[7:8]
	v_fma_f64 v[52:53], v[52:53], v[9:10], -v[117:118]
	v_fma_f64 v[10:11], v[54:55], v[9:10], v[11:12]
	;; [unrolled: 2-line block ×6, first 2 shown]
	v_or_b32_e32 v119, 0xffffffc8, v80
	v_or_b32_e32 v120, 0xffffffd0, v80
	;; [unrolled: 1-line block ×5, first 2 shown]
	v_or_b32_e32 v124, -16, v80
	v_or_b32_e32 v125, -8, v80
	v_add_f64_e32 v[58:59], v[29:30], v[40:41]
	v_add_f64_e32 v[60:61], v[31:32], v[42:43]
	;; [unrolled: 1-line block ×4, first 2 shown]
	v_fma_f64 v[66:67], v[68:69], v[21:22], -v[99:100]
	v_fma_f64 v[20:21], v[70:71], v[21:22], v[23:24]
	v_fma_f64 v[22:23], v[95:96], v[25:26], -v[101:102]
	v_fma_f64 v[24:25], v[97:98], v[25:26], v[27:28]
	v_add_f64_e64 v[44:45], v[33:34], -v[44:45]
	v_add_f64_e64 v[46:47], v[35:36], -v[46:47]
	v_add_f64_e32 v[68:69], v[48:49], v[54:55]
	v_add_f64_e32 v[70:71], v[50:51], v[12:13]
	;; [unrolled: 1-line block ×4, first 2 shown]
	v_add_f64_e64 v[12:13], v[50:51], -v[12:13]
	v_add_f64_e32 v[26:27], v[5:6], v[18:19]
	v_add_f64_e32 v[33:34], v[7:8], v[56:57]
	v_add_f64_e64 v[95:96], v[18:19], -v[5:6]
	v_add_f64_e64 v[56:57], v[56:57], -v[7:8]
	;; [unrolled: 1-line block ×7, first 2 shown]
	v_add_f64_e32 v[28:29], v[62:63], v[58:59]
	v_add_f64_e32 v[30:31], v[64:65], v[60:61]
	;; [unrolled: 1-line block ×4, first 2 shown]
	v_add_f64_e64 v[66:67], v[22:23], -v[66:67]
	v_add_f64_e64 v[97:98], v[24:25], -v[20:21]
	v_add_f64_e32 v[48:49], v[91:92], v[68:69]
	v_add_f64_e32 v[50:51], v[93:94], v[70:71]
	v_add_f64_e64 v[54:55], v[58:59], -v[26:27]
	v_add_f64_e64 v[99:100], v[60:61], -v[33:34]
	;; [unrolled: 1-line block ×10, first 2 shown]
	v_add_f64_e32 v[14:15], v[26:27], v[28:29]
	v_add_f64_e32 v[16:17], v[33:34], v[30:31]
	v_add_f64_e64 v[30:31], v[40:41], -v[10:11]
	v_add_f64_e64 v[32:33], v[42:43], -v[12:13]
	v_add_f64_e64 v[105:106], v[68:69], -v[35:36]
	v_add_f64_e64 v[107:108], v[70:71], -v[52:53]
	v_add_f64_e64 v[109:110], v[66:67], -v[40:41]
	v_add_f64_e64 v[111:112], v[97:98], -v[42:43]
	v_add_f64_e32 v[113:114], v[97:98], v[42:43]
	v_add_f64_e32 v[26:27], v[35:36], v[48:49]
	;; [unrolled: 1-line block ×3, first 2 shown]
	v_add_f64_e64 v[34:35], v[35:36], -v[91:92]
	v_add_f64_e64 v[36:37], v[52:53], -v[93:94]
	v_add_f64_e32 v[48:49], v[95:96], v[44:45]
	v_add_f64_e32 v[50:51], v[56:57], v[46:47]
	;; [unrolled: 1-line block ×3, first 2 shown]
	v_mul_f64_e32 v[54:55], s[26:27], v[54:55]
	v_mul_f64_e32 v[62:63], s[26:27], v[99:100]
	;; [unrolled: 1-line block ×3, first 2 shown]
	v_add_f64_e64 v[95:96], v[6:7], -v[95:96]
	v_mul_f64_e32 v[99:100], s[28:29], v[103:104]
	v_add_f64_e64 v[56:57], v[8:9], -v[56:57]
	v_mul_f64_e32 v[101:102], s[16:17], v[20:21]
	s_wait_alu 0xfffe
	v_mul_f64_e32 v[115:116], s[6:7], v[24:25]
	v_mul_f64_e32 v[117:118], s[6:7], v[18:19]
	;; [unrolled: 1-line block ×3, first 2 shown]
	v_add_f64_e64 v[66:67], v[10:11], -v[66:67]
	v_add_f64_e32 v[40:41], v[72:73], v[14:15]
	v_add_f64_e32 v[42:43], v[74:75], v[16:17]
	v_add_f64_e64 v[72:73], v[12:13], -v[97:98]
	v_mul_f64_e32 v[74:75], s[26:27], v[105:106]
	v_mul_f64_e32 v[97:98], s[26:27], v[107:108]
	v_mul_f64_e32 v[105:106], s[28:29], v[109:110]
	v_mul_f64_e32 v[107:108], s[28:29], v[111:112]
	v_mul_f64_e32 v[109:110], s[6:7], v[30:31]
	v_mul_f64_e32 v[111:112], s[6:7], v[32:33]
	v_add_f64_e32 v[12:13], v[113:114], v[12:13]
	v_add_f64_e32 v[44:45], v[1:2], v[26:27]
	;; [unrolled: 1-line block ×3, first 2 shown]
	v_add_f64_e64 v[1:2], v[91:92], -v[68:69]
	v_add_f64_e64 v[3:4], v[93:94], -v[70:71]
	v_mul_f64_e32 v[68:69], s[16:17], v[34:35]
	v_mul_f64_e32 v[70:71], s[16:17], v[36:37]
	v_add_f64_e32 v[6:7], v[48:49], v[6:7]
	v_add_f64_e32 v[8:9], v[50:51], v[8:9]
	v_fma_f64 v[20:21], v[20:21], s[16:17], v[54:55]
	v_fma_f64 v[22:23], v[22:23], s[16:17], v[62:63]
	;; [unrolled: 1-line block ×3, first 2 shown]
	v_add_f64_e32 v[10:11], v[52:53], v[10:11]
	v_fma_f64 v[50:51], v[56:57], s[22:23], v[99:100]
	v_fma_f64 v[52:53], v[58:59], s[18:19], -v[101:102]
	v_fma_f64 v[91:92], v[95:96], s[24:25], -v[115:116]
	;; [unrolled: 1-line block ×8, first 2 shown]
	v_fma_f64 v[14:15], v[14:15], s[12:13], v[40:41]
	v_fma_f64 v[16:17], v[16:17], s[12:13], v[42:43]
	;; [unrolled: 1-line block ×6, first 2 shown]
	v_fma_f64 v[66:67], v[66:67], s[24:25], -v[109:110]
	v_fma_f64 v[72:73], v[72:73], s[24:25], -v[111:112]
	;; [unrolled: 1-line block ×4, first 2 shown]
	v_fma_f64 v[26:27], v[26:27], s[12:13], v[44:45]
	v_fma_f64 v[28:29], v[28:29], s[12:13], v[46:47]
	v_fma_f64 v[74:75], v[1:2], s[20:21], -v[74:75]
	v_fma_f64 v[93:94], v[3:4], s[20:21], -v[97:98]
	;; [unrolled: 1-line block ×4, first 2 shown]
	s_wait_alu 0xfffd
	v_cndmask_b32_e32 v4, v119, v80, vcc_lo
	v_cmp_gt_u32_e32 vcc_lo, 0x300, v0
	v_mov_b32_e32 v5, 0
	v_mul_u32_u24_e32 v3, 56, v76
	v_fma_f64 v[48:49], v[6:7], s[14:15], v[48:49]
	v_fma_f64 v[50:51], v[8:9], s[14:15], v[50:51]
	s_wait_alu 0xfffd
	v_cndmask_b32_e32 v70, v120, v88, vcc_lo
	v_fma_f64 v[91:92], v[6:7], s[14:15], v[91:92]
	v_fma_f64 v[56:57], v[8:9], s[14:15], v[56:57]
	v_cmp_gt_u32_e32 vcc_lo, 0x280, v0
	v_dual_mov_b32 v71, v5 :: v_dual_mov_b32 v98, v5
	v_fma_f64 v[24:25], v[6:7], s[14:15], v[24:25]
	v_fma_f64 v[18:19], v[8:9], s[14:15], v[18:19]
	s_wait_alu 0xfffd
	v_cndmask_b32_e32 v95, v121, v81, vcc_lo
	v_cmp_gt_u32_e32 vcc_lo, 0x200, v0
	v_lshlrev_b64_e32 v[113:114], 4, v[4:5]
	v_mov_b32_e32 v96, v5
	v_lshlrev_b64_e32 v[115:116], 4, v[70:71]
	v_add_f64_e32 v[101:102], v[20:21], v[14:15]
	v_add_f64_e32 v[103:104], v[22:23], v[16:17]
	;; [unrolled: 1-line block ×6, first 2 shown]
	v_fma_f64 v[64:65], v[10:11], s[14:15], v[60:61]
	v_fma_f64 v[60:61], v[12:13], s[14:15], v[62:63]
	;; [unrolled: 1-line block ×6, first 2 shown]
	v_add_f64_e32 v[105:106], v[34:35], v[26:27]
	v_add_f64_e32 v[107:108], v[36:37], v[28:29]
	;; [unrolled: 1-line block ×6, first 2 shown]
	s_wait_alu 0xfffd
	v_dual_cndmask_b32 v97, v122, v82 :: v_dual_mov_b32 v100, v5
	v_cmp_gt_u32_e32 vcc_lo, 0x180, v0
	v_lshlrev_b64_e32 v[117:118], 4, v[95:96]
	v_mov_b32_e32 v110, v5
	s_delay_alu instid0(VALU_DEP_4) | instskip(SKIP_4) | instid1(VALU_DEP_3)
	v_lshlrev_b64_e32 v[119:120], 4, v[97:98]
	v_or_b32_e32 v3, v3, v80
	s_wait_alu 0xfffd
	v_cndmask_b32_e32 v99, v123, v83, vcc_lo
	v_cmp_gt_u32_e32 vcc_lo, 0x100, v0
	v_dual_mov_b32 v112, v5 :: v_dual_lshlrev_b32 v3, 8, v3
	s_delay_alu instid0(VALU_DEP_3) | instskip(SKIP_4) | instid1(VALU_DEP_3)
	v_lshlrev_b64_e32 v[121:122], 4, v[99:100]
	s_wait_alu 0xfffd
	v_cndmask_b32_e32 v109, v124, v85, vcc_lo
	v_cmp_gt_u32_e32 vcc_lo, 0x80, v0
	v_add3_u32 v3, 0, v3, v77
	v_lshlrev_b64_e32 v[123:124], 4, v[109:110]
	s_wait_alu 0xfffd
	v_cndmask_b32_e32 v111, v125, v84, vcc_lo
	v_add_f64_e32 v[6:7], v[50:51], v[101:102]
	v_add_f64_e64 v[8:9], v[103:104], -v[48:49]
	v_add_f64_e32 v[10:11], v[56:57], v[22:23]
	v_add_f64_e64 v[12:13], v[54:55], -v[91:92]
	v_add_f64_e64 v[14:15], v[20:21], -v[18:19]
	v_add_f64_e32 v[16:17], v[24:25], v[52:53]
	v_add_f64_e32 v[18:19], v[18:19], v[20:21]
	v_add_f64_e64 v[20:21], v[52:53], -v[24:25]
	v_add_f64_e64 v[22:23], v[22:23], -v[56:57]
	v_add_f64_e32 v[24:25], v[91:92], v[54:55]
	v_add_f64_e64 v[26:27], v[101:102], -v[50:51]
	v_add_f64_e32 v[28:29], v[48:49], v[103:104]
	v_add_f64_e32 v[30:31], v[60:61], v[105:106]
	v_add_f64_e64 v[32:33], v[107:108], -v[64:65]
	v_add_f64_e32 v[34:35], v[72:73], v[74:75]
	v_add_f64_e64 v[36:37], v[93:94], -v[66:67]
	v_add_f64_e64 v[48:49], v[1:2], -v[62:63]
	v_add_f64_e32 v[50:51], v[58:59], v[68:69]
	v_add_f64_e32 v[52:53], v[62:63], v[1:2]
	v_add_f64_e64 v[54:55], v[68:69], -v[58:59]
	v_add_f64_e64 v[56:57], v[74:75], -v[72:73]
	v_add_f64_e32 v[58:59], v[66:67], v[93:94]
	v_add_f64_e64 v[60:61], v[105:106], -v[60:61]
	v_add_f64_e32 v[62:63], v[64:65], v[107:108]
	v_add_co_u32 v1, vcc_lo, s4, v113
	s_wait_alu 0xfffd
	v_add_co_ci_u32_e32 v2, vcc_lo, s5, v114, vcc_lo
	v_add_co_u32 v64, vcc_lo, s4, v115
	s_wait_alu 0xfffd
	v_add_co_ci_u32_e32 v65, vcc_lo, s5, v116, vcc_lo
	;; [unrolled: 3-line block ×4, first 2 shown]
	v_lshlrev_b64_e32 v[125:126], 4, v[111:112]
	v_add_co_u32 v71, vcc_lo, s4, v121
	s_wait_alu 0xfffd
	v_add_co_ci_u32_e32 v72, vcc_lo, s5, v122, vcc_lo
	v_add_co_u32 v73, vcc_lo, s4, v123
	ds_store_b128 v79, v[40:43]
	ds_store_b128 v79, v[6:9] offset:2048
	ds_store_b128 v79, v[10:13] offset:4096
	;; [unrolled: 1-line block ×6, first 2 shown]
	ds_store_b128 v3, v[44:47]
	ds_store_b128 v3, v[30:33] offset:2048
	ds_store_b128 v3, v[34:37] offset:4096
	;; [unrolled: 1-line block ×6, first 2 shown]
	global_wb scope:SCOPE_SE
	s_wait_dscnt 0x0
	s_barrier_signal -1
	s_barrier_wait -1
	global_inv scope:SCOPE_SE
	s_clause 0x3
	global_load_b128 v[6:9], v[1:2], off offset:864
	global_load_b128 v[10:13], v[64:65], off offset:864
	;; [unrolled: 1-line block ×4, first 2 shown]
	s_wait_alu 0xfffd
	v_add_co_ci_u32_e32 v74, vcc_lo, s5, v124, vcc_lo
	v_add_co_u32 v1, vcc_lo, s4, v125
	s_wait_alu 0xfffd
	v_add_co_ci_u32_e32 v2, vcc_lo, s5, v126, vcc_lo
	s_clause 0x2
	global_load_b128 v[22:25], v[71:72], off offset:864
	global_load_b128 v[26:29], v[73:74], off offset:864
	;; [unrolled: 1-line block ×3, first 2 shown]
	v_cmp_lt_u32_e32 vcc_lo, 0x37f, v0
	v_sub_nc_u32_e32 v68, v88, v70
	s_mul_u64 s[4:5], s[10:11], s[2:3]
	s_mul_i32 s2, s8, 56
	v_lshlrev_b32_e32 v65, 8, v85
	s_wait_alu 0xfffd
	v_cndmask_b32_e64 v0, 0, 0x70, vcc_lo
	v_add3_u32 v94, 0, v90, v77
	v_or_b32_e32 v64, s30, v78
	s_wait_alu 0xfffe
	s_lshl_b64 s[4:5], s[4:5], 4
	v_add3_u32 v96, 0, v65, v77
	v_add_nc_u32_e32 v4, v4, v0
	ds_load_b128 v[0:3], v89
	ds_load_b128 v[34:37], v89 offset:14336
	ds_load_b128 v[40:43], v89 offset:16384
	ds_load_b128 v[44:47], v89 offset:18432
	ds_load_b128 v[48:51], v89 offset:20480
	ds_load_b128 v[52:55], v89 offset:22528
	v_mul_lo_u32 v4, v4, s8
	ds_load_b128 v[56:59], v89 offset:24576
	ds_load_b128 v[60:63], v89 offset:26624
	v_dual_mov_b32 v65, v5 :: v_dual_add_nc_u32 v70, v68, v88
	s_wait_alu 0xfffe
	s_add_nc_u64 s[0:1], s[0:1], s[4:5]
	v_sub_nc_u32_e32 v98, v85, v109
	v_lshlrev_b64_e32 v[66:67], 4, v[4:5]
	v_add_nc_u32_e32 v4, s2, v4
	v_sub_nc_u32_e32 v80, v81, v95
	v_lshlrev_b64_e32 v[64:65], 4, v[64:65]
	v_sub_nc_u32_e32 v95, v82, v97
	v_sub_nc_u32_e32 v97, v83, v99
	v_lshlrev_b64_e32 v[68:69], 4, v[4:5]
	v_mul_lo_u32 v4, v70, s8
	v_add_nc_u32_e32 v100, v80, v81
	v_add_nc_u32_e32 v82, v95, v82
	v_add_co_u32 v95, vcc_lo, s0, v64
	v_add_nc_u32_e32 v83, v97, v83
	s_wait_alu 0xfffd
	v_add_co_ci_u32_e32 v97, vcc_lo, s1, v65, vcc_lo
	v_lshlrev_b64_e32 v[92:93], 4, v[4:5]
	v_add_nc_u32_e32 v4, s2, v4
	v_add_co_u32 v64, vcc_lo, v95, v66
	s_wait_alu 0xfffd
	v_add_co_ci_u32_e32 v65, vcc_lo, v97, v67, vcc_lo
	s_delay_alu instid0(VALU_DEP_3)
	v_lshlrev_b64_e32 v[80:81], 4, v[4:5]
	v_mul_lo_u32 v4, v100, s8
	v_add_co_u32 v68, vcc_lo, v95, v68
	s_wait_alu 0xfffd
	v_add_co_ci_u32_e32 v69, vcc_lo, v97, v69, vcc_lo
	v_add_nc_u32_e32 v85, v98, v85
	v_sub_nc_u32_e32 v99, v84, v111
	v_lshlrev_b64_e32 v[66:67], 4, v[4:5]
	v_add_nc_u32_e32 v4, s2, v4
	s_delay_alu instid0(VALU_DEP_3)
	v_add_nc_u32_e32 v84, v99, v84
	s_wait_loadcnt_dscnt 0x606
	v_mul_f64_e32 v[70:71], v[36:37], v[8:9]
	v_mul_f64_e32 v[8:9], v[34:35], v[8:9]
	s_wait_loadcnt_dscnt 0x505
	v_mul_f64_e32 v[72:73], v[42:43], v[12:13]
	v_mul_f64_e32 v[12:13], v[40:41], v[12:13]
	;; [unrolled: 3-line block ×7, first 2 shown]
	v_fma_f64 v[34:35], v[34:35], v[6:7], -v[70:71]
	v_fma_f64 v[36:37], v[36:37], v[6:7], v[8:9]
	v_fma_f64 v[40:41], v[40:41], v[10:11], -v[72:73]
	v_fma_f64 v[42:43], v[42:43], v[10:11], v[12:13]
	;; [unrolled: 2-line block ×4, first 2 shown]
	ds_load_b128 v[6:9], v86
	ds_load_b128 v[10:13], v87
	;; [unrolled: 1-line block ×4, first 2 shown]
	v_fma_f64 v[52:53], v[52:53], v[22:23], -v[78:79]
	v_fma_f64 v[54:55], v[54:55], v[22:23], v[24:25]
	v_fma_f64 v[56:57], v[56:57], v[26:27], -v[88:89]
	v_fma_f64 v[58:59], v[58:59], v[26:27], v[28:29]
	;; [unrolled: 2-line block ×3, first 2 shown]
	ds_load_b128 v[22:25], v96
	ds_load_b128 v[26:29], v39
	v_lshlrev_b64_e32 v[70:71], 4, v[4:5]
	v_mul_lo_u32 v4, v82, s8
	v_add_co_u32 v72, vcc_lo, v95, v92
	s_wait_alu 0xfffd
	v_add_co_ci_u32_e32 v73, vcc_lo, v97, v93, vcc_lo
	v_add_co_u32 v76, vcc_lo, v95, v80
	s_wait_alu 0xfffd
	v_add_co_ci_u32_e32 v77, vcc_lo, v97, v81, vcc_lo
	v_lshlrev_b64_e32 v[74:75], 4, v[4:5]
	v_add_nc_u32_e32 v4, s2, v4
	s_delay_alu instid0(VALU_DEP_1)
	v_lshlrev_b64_e32 v[78:79], 4, v[4:5]
	v_mul_lo_u32 v4, v83, s8
	v_add_f64_e64 v[30:31], v[0:1], -v[34:35]
	v_add_f64_e64 v[32:33], v[2:3], -v[36:37]
	s_wait_dscnt 0x5
	v_add_f64_e64 v[34:35], v[6:7], -v[40:41]
	v_add_f64_e64 v[36:37], v[8:9], -v[42:43]
	s_wait_dscnt 0x4
	;; [unrolled: 3-line block ×6, first 2 shown]
	v_add_f64_e64 v[54:55], v[26:27], -v[60:61]
	v_add_f64_e64 v[56:57], v[28:29], -v[62:63]
	v_add_co_u32 v58, vcc_lo, v95, v66
	v_lshlrev_b64_e32 v[62:63], 4, v[4:5]
	v_add_nc_u32_e32 v4, s2, v4
	s_wait_alu 0xfffd
	v_add_co_ci_u32_e32 v59, vcc_lo, v97, v67, vcc_lo
	v_add_co_u32 v60, vcc_lo, v95, v70
	s_wait_alu 0xfffd
	v_add_co_ci_u32_e32 v61, vcc_lo, v97, v71, vcc_lo
	v_lshlrev_b64_e32 v[70:71], 4, v[4:5]
	v_mul_lo_u32 v4, v85, s8
	v_add_co_u32 v66, vcc_lo, v95, v74
	s_wait_alu 0xfffd
	v_add_co_ci_u32_e32 v67, vcc_lo, v97, v75, vcc_lo
	v_add_co_u32 v74, vcc_lo, v95, v78
	s_wait_alu 0xfffd
	v_add_co_ci_u32_e32 v75, vcc_lo, v97, v79, vcc_lo
	v_lshlrev_b64_e32 v[78:79], 4, v[4:5]
	v_add_nc_u32_e32 v4, s2, v4
	v_add_co_u32 v62, vcc_lo, v95, v62
	v_fma_f64 v[0:1], v[0:1], 2.0, -v[30:31]
	v_fma_f64 v[2:3], v[2:3], 2.0, -v[32:33]
	;; [unrolled: 1-line block ×14, first 2 shown]
	v_lshlrev_b64_e32 v[80:81], 4, v[4:5]
	v_mul_lo_u32 v4, v84, s8
	s_wait_alu 0xfffd
	v_add_co_ci_u32_e32 v63, vcc_lo, v97, v63, vcc_lo
	v_add_co_u32 v70, vcc_lo, v95, v70
	s_wait_alu 0xfffd
	v_add_co_ci_u32_e32 v71, vcc_lo, v97, v71, vcc_lo
	v_add_co_u32 v78, vcc_lo, v95, v78
	v_lshlrev_b64_e32 v[82:83], 4, v[4:5]
	v_add_nc_u32_e32 v4, s2, v4
	s_wait_alu 0xfffd
	v_add_co_ci_u32_e32 v79, vcc_lo, v97, v79, vcc_lo
	v_add_co_u32 v80, vcc_lo, v95, v80
	s_delay_alu instid0(VALU_DEP_3)
	v_lshlrev_b64_e32 v[4:5], 4, v[4:5]
	s_wait_alu 0xfffd
	v_add_co_ci_u32_e32 v81, vcc_lo, v97, v81, vcc_lo
	v_add_co_u32 v82, vcc_lo, v95, v82
	s_wait_alu 0xfffd
	v_add_co_ci_u32_e32 v83, vcc_lo, v97, v83, vcc_lo
	v_add_co_u32 v4, vcc_lo, v95, v4
	s_wait_alu 0xfffd
	v_add_co_ci_u32_e32 v5, vcc_lo, v97, v5, vcc_lo
	s_clause 0xd
	global_store_b128 v[64:65], v[0:3], off
	global_store_b128 v[68:69], v[30:33], off
	;; [unrolled: 1-line block ×14, first 2 shown]
	s_nop 0
	s_sendmsg sendmsg(MSG_DEALLOC_VGPRS)
	s_endpgm
	.section	.rodata,"a",@progbits
	.p2align	6, 0x0
	.amdhsa_kernel fft_rtc_fwd_len112_factors_2_4_7_2_wgs_128_tpt_8_dim2_dp_op_CI_CI_unitstride_sbrc_aligned_dirReg
		.amdhsa_group_segment_fixed_size 0
		.amdhsa_private_segment_fixed_size 0
		.amdhsa_kernarg_size 96
		.amdhsa_user_sgpr_count 2
		.amdhsa_user_sgpr_dispatch_ptr 0
		.amdhsa_user_sgpr_queue_ptr 0
		.amdhsa_user_sgpr_kernarg_segment_ptr 1
		.amdhsa_user_sgpr_dispatch_id 0
		.amdhsa_user_sgpr_private_segment_size 0
		.amdhsa_wavefront_size32 1
		.amdhsa_uses_dynamic_stack 0
		.amdhsa_enable_private_segment 0
		.amdhsa_system_sgpr_workgroup_id_x 1
		.amdhsa_system_sgpr_workgroup_id_y 0
		.amdhsa_system_sgpr_workgroup_id_z 0
		.amdhsa_system_sgpr_workgroup_info 0
		.amdhsa_system_vgpr_workitem_id 0
		.amdhsa_next_free_vgpr 131
		.amdhsa_next_free_sgpr 31
		.amdhsa_reserve_vcc 1
		.amdhsa_float_round_mode_32 0
		.amdhsa_float_round_mode_16_64 0
		.amdhsa_float_denorm_mode_32 3
		.amdhsa_float_denorm_mode_16_64 3
		.amdhsa_fp16_overflow 0
		.amdhsa_workgroup_processor_mode 1
		.amdhsa_memory_ordered 1
		.amdhsa_forward_progress 0
		.amdhsa_round_robin_scheduling 0
		.amdhsa_exception_fp_ieee_invalid_op 0
		.amdhsa_exception_fp_denorm_src 0
		.amdhsa_exception_fp_ieee_div_zero 0
		.amdhsa_exception_fp_ieee_overflow 0
		.amdhsa_exception_fp_ieee_underflow 0
		.amdhsa_exception_fp_ieee_inexact 0
		.amdhsa_exception_int_div_zero 0
	.end_amdhsa_kernel
	.text
.Lfunc_end0:
	.size	fft_rtc_fwd_len112_factors_2_4_7_2_wgs_128_tpt_8_dim2_dp_op_CI_CI_unitstride_sbrc_aligned_dirReg, .Lfunc_end0-fft_rtc_fwd_len112_factors_2_4_7_2_wgs_128_tpt_8_dim2_dp_op_CI_CI_unitstride_sbrc_aligned_dirReg
                                        ; -- End function
	.section	.AMDGPU.csdata,"",@progbits
; Kernel info:
; codeLenInByte = 8168
; NumSgprs: 33
; NumVgprs: 131
; ScratchSize: 0
; MemoryBound: 0
; FloatMode: 240
; IeeeMode: 1
; LDSByteSize: 0 bytes/workgroup (compile time only)
; SGPRBlocks: 4
; VGPRBlocks: 16
; NumSGPRsForWavesPerEU: 33
; NumVGPRsForWavesPerEU: 131
; Occupancy: 10
; WaveLimiterHint : 1
; COMPUTE_PGM_RSRC2:SCRATCH_EN: 0
; COMPUTE_PGM_RSRC2:USER_SGPR: 2
; COMPUTE_PGM_RSRC2:TRAP_HANDLER: 0
; COMPUTE_PGM_RSRC2:TGID_X_EN: 1
; COMPUTE_PGM_RSRC2:TGID_Y_EN: 0
; COMPUTE_PGM_RSRC2:TGID_Z_EN: 0
; COMPUTE_PGM_RSRC2:TIDIG_COMP_CNT: 0
	.text
	.p2alignl 7, 3214868480
	.fill 96, 4, 3214868480
	.type	__hip_cuid_e5ebdbb20c99eca1,@object ; @__hip_cuid_e5ebdbb20c99eca1
	.section	.bss,"aw",@nobits
	.globl	__hip_cuid_e5ebdbb20c99eca1
__hip_cuid_e5ebdbb20c99eca1:
	.byte	0                               ; 0x0
	.size	__hip_cuid_e5ebdbb20c99eca1, 1

	.ident	"AMD clang version 19.0.0git (https://github.com/RadeonOpenCompute/llvm-project roc-6.4.0 25133 c7fe45cf4b819c5991fe208aaa96edf142730f1d)"
	.section	".note.GNU-stack","",@progbits
	.addrsig
	.addrsig_sym __hip_cuid_e5ebdbb20c99eca1
	.amdgpu_metadata
---
amdhsa.kernels:
  - .args:
      - .actual_access:  read_only
        .address_space:  global
        .offset:         0
        .size:           8
        .value_kind:     global_buffer
      - .actual_access:  read_only
        .address_space:  global
        .offset:         8
        .size:           8
        .value_kind:     global_buffer
      - .actual_access:  read_only
        .address_space:  global
        .offset:         16
        .size:           8
        .value_kind:     global_buffer
      - .actual_access:  read_only
        .address_space:  global
        .offset:         24
        .size:           8
        .value_kind:     global_buffer
      - .offset:         32
        .size:           8
        .value_kind:     by_value
      - .actual_access:  read_only
        .address_space:  global
        .offset:         40
        .size:           8
        .value_kind:     global_buffer
      - .actual_access:  read_only
        .address_space:  global
        .offset:         48
        .size:           8
        .value_kind:     global_buffer
      - .offset:         56
        .size:           4
        .value_kind:     by_value
      - .actual_access:  read_only
        .address_space:  global
        .offset:         64
        .size:           8
        .value_kind:     global_buffer
      - .actual_access:  read_only
        .address_space:  global
        .offset:         72
        .size:           8
        .value_kind:     global_buffer
      - .actual_access:  read_only
        .address_space:  global
        .offset:         80
        .size:           8
        .value_kind:     global_buffer
      - .actual_access:  write_only
        .address_space:  global
        .offset:         88
        .size:           8
        .value_kind:     global_buffer
    .group_segment_fixed_size: 0
    .kernarg_segment_align: 8
    .kernarg_segment_size: 96
    .language:       OpenCL C
    .language_version:
      - 2
      - 0
    .max_flat_workgroup_size: 128
    .name:           fft_rtc_fwd_len112_factors_2_4_7_2_wgs_128_tpt_8_dim2_dp_op_CI_CI_unitstride_sbrc_aligned_dirReg
    .private_segment_fixed_size: 0
    .sgpr_count:     33
    .sgpr_spill_count: 0
    .symbol:         fft_rtc_fwd_len112_factors_2_4_7_2_wgs_128_tpt_8_dim2_dp_op_CI_CI_unitstride_sbrc_aligned_dirReg.kd
    .uniform_work_group_size: 1
    .uses_dynamic_stack: false
    .vgpr_count:     131
    .vgpr_spill_count: 0
    .wavefront_size: 32
    .workgroup_processor_mode: 1
amdhsa.target:   amdgcn-amd-amdhsa--gfx1201
amdhsa.version:
  - 1
  - 2
...

	.end_amdgpu_metadata
